;; amdgpu-corpus repo=zjin-lcf/HeCBench kind=compiled arch=gfx906 opt=O3
	.amdgcn_target "amdgcn-amd-amdhsa--gfx906"
	.amdhsa_code_object_version 6
	.text
	.protected	_Z12sneaky_snakePKjS0_Piii ; -- Begin function _Z12sneaky_snakePKjS0_Piii
	.globl	_Z12sneaky_snakePKjS0_Piii
	.p2align	8
	.type	_Z12sneaky_snakePKjS0_Piii,@function
_Z12sneaky_snakePKjS0_Piii:             ; @_Z12sneaky_snakePKjS0_Piii
; %bb.0:
	s_load_dword s0, s[4:5], 0x2c
	s_load_dwordx2 s[28:29], s[4:5], 0x18
	s_waitcnt lgkmcnt(0)
	s_and_b32 s0, s0, 0xffff
	s_mul_i32 s6, s6, s0
	v_add_u32_e32 v16, s6, v0
	v_cmp_gt_i32_e32 vcc, s28, v16
	s_and_saveexec_b64 s[0:1], vcc
	s_cbranch_execz .LBB0_45
; %bb.1:
	s_load_dwordx4 s[0:3], s[4:5], 0x0
	s_load_dwordx2 s[6:7], s[4:5], 0x10
	v_lshlrev_b32_e32 v0, 3, v16
	v_ashrrev_i32_e32 v1, 31, v0
	v_lshlrev_b64 v[8:9], 2, v[0:1]
	s_waitcnt lgkmcnt(0)
	v_mov_b32_e32 v0, s1
	v_add_co_u32_e32 v10, vcc, s0, v8
	v_addc_co_u32_e32 v11, vcc, v0, v9, vcc
	global_load_dwordx4 v[0:3], v[10:11], off offset:16
	global_load_dwordx4 v[4:7], v[10:11], off
	v_mov_b32_e32 v10, s3
	v_add_co_u32_e32 v17, vcc, s2, v8
	v_addc_co_u32_e32 v18, vcc, v10, v9, vcc
	global_load_dwordx4 v[8:11], v[17:18], off offset:16
	global_load_dwordx4 v[12:15], v[17:18], off
	v_ashrrev_i32_e32 v17, 31, v16
	v_lshlrev_b64 v[16:17], 2, v[16:17]
	v_mov_b32_e32 v18, s7
	v_add_co_u32_e32 v16, vcc, s6, v16
	v_addc_co_u32_e32 v17, vcc, v18, v17, vcc
	v_mov_b32_e32 v18, 1
	s_cmp_gt_i32 s29, 0
	global_store_dword v[16:17], v18, off
	v_mov_b32_e32 v18, 0
	s_mov_b64 s[30:31], 0
	s_cselect_b64 s[34:35], -1, 0
	s_movk_i32 s28, 0xa9
	s_movk_i32 s33, 0xc7
	v_mov_b32_e32 v19, 0
	v_mov_b32_e32 v20, 0
	;; [unrolled: 1-line block ×3, first 2 shown]
                                        ; implicit-def: $sgpr36_sgpr37
                                        ; implicit-def: $sgpr38_sgpr39
	s_branch .LBB0_4
.LBB0_2:                                ;   in Loop: Header=BB0_4 Depth=1
	s_or_b64 exec, exec, s[6:7]
	s_andn2_b64 s[6:7], s[38:39], exec
	s_and_b64 s[2:3], s[2:3], exec
	s_or_b64 s[38:39], s[6:7], s[2:3]
	s_orn2_b64 s[0:1], s[0:1], exec
.LBB0_3:                                ;   in Loop: Header=BB0_4 Depth=1
	s_or_b64 exec, exec, s[4:5]
	s_and_b64 s[0:1], exec, s[0:1]
	s_or_b64 s[30:31], s[0:1], s[30:31]
	s_andn2_b64 s[0:1], s[36:37], exec
	s_and_b64 s[2:3], s[38:39], exec
	s_or_b64 s[36:37], s[0:1], s[2:3]
	s_andn2_b64 exec, exec, s[30:31]
	s_cbranch_execz .LBB0_43
.LBB0_4:                                ; =>This Loop Header: Depth=1
                                        ;     Child Loop BB0_6 Depth 2
                                        ;       Child Loop BB0_14 Depth 3
                                        ;     Child Loop BB0_20 Depth 2
                                        ;       Child Loop BB0_24 Depth 3
                                        ;       Child Loop BB0_29 Depth 3
	v_cmp_eq_u32_e32 vcc, 1, v18
	s_waitcnt vmcnt(1)
	v_cndmask_b32_e32 v22, v12, v13, vcc
	v_cmp_eq_u32_e64 s[2:3], 2, v18
	v_cndmask_b32_e64 v22, v22, v14, s[2:3]
	v_cmp_eq_u32_e64 s[4:5], 3, v18
	v_cndmask_b32_e64 v22, v22, v15, s[4:5]
	;; [unrolled: 2-line block ×6, first 2 shown]
	v_add_u32_e32 v22, 1, v18
	v_cmp_eq_u32_e64 s[14:15], 1, v22
	v_cndmask_b32_e64 v24, v12, v13, s[14:15]
	v_cmp_eq_u32_e64 s[16:17], 2, v22
	v_cndmask_b32_e64 v24, v24, v14, s[16:17]
	;; [unrolled: 2-line block ×6, first 2 shown]
	v_cmp_eq_u32_e64 s[26:27], 7, v22
	v_sub_u32_e32 v25, 32, v19
	v_cmp_ne_u32_e64 s[0:1], 0, v19
	v_cndmask_b32_e64 v24, v24, v11, s[26:27]
	v_cndmask_b32_e64 v27, 0, v25, s[0:1]
	v_lshrrev_b32_e32 v24, v27, v24
	v_lshl_or_b32 v24, v23, v19, v24
	v_cndmask_b32_e64 v23, 0, 1, s[34:35]
	v_cmp_ne_u32_e64 s[0:1], 1, v23
	v_cndmask_b32_e32 v23, v4, v5, vcc
	v_cndmask_b32_e64 v23, v23, v6, s[2:3]
	v_cndmask_b32_e64 v23, v23, v7, s[4:5]
	;; [unrolled: 1-line block ×13, first 2 shown]
	v_lshrrev_b32_e32 v23, v27, v26
	v_lshl_or_b32 v23, v25, v19, v23
	v_xor_b32_e32 v23, v23, v24
	v_ffbh_u32_e32 v23, v23
	s_andn2_b64 vcc, exec, s[34:35]
	v_min_u32_e32 v23, 32, v23
	s_cbranch_vccnz .LBB0_18
; %bb.5:                                ;   in Loop: Header=BB0_4 Depth=1
	v_add_u32_e32 v27, -1, v18
	v_cmp_eq_u32_e64 s[2:3], 1, v27
	v_cndmask_b32_e64 v28, v4, v5, s[2:3]
	v_cmp_eq_u32_e64 s[2:3], 2, v27
	v_cndmask_b32_e64 v28, v28, v6, s[2:3]
	;; [unrolled: 2-line block ×5, first 2 shown]
	v_cmp_eq_u32_e64 s[2:3], 6, v27
	v_cmp_eq_u32_e32 vcc, 0, v18
	v_cndmask_b32_e64 v28, v28, v2, s[2:3]
	v_cmp_eq_u32_e64 s[2:3], 7, v27
	s_mov_b32 s8, 1
	v_cndmask_b32_e64 v27, v28, v3, s[2:3]
	v_sub_u32_e32 v28, 2, v19
	s_xor_b64 s[2:3], vcc, -1
.LBB0_6:                                ;   Parent Loop BB0_4 Depth=1
                                        ; =>  This Loop Header: Depth=2
                                        ;       Child Loop BB0_14 Depth 3
	s_lshl_b32 s9, s8, 1
	v_cmp_le_u32_e32 vcc, s9, v19
	s_or_b64 s[4:5], s[2:3], vcc
                                        ; implicit-def: $vgpr29
	s_and_saveexec_b64 s[6:7], s[4:5]
	s_xor_b64 s[4:5], exec, s[6:7]
	s_cbranch_execz .LBB0_12
; %bb.7:                                ;   in Loop: Header=BB0_6 Depth=2
	v_subrev_u32_e32 v30, s9, v19
	v_cmp_lt_i32_e32 vcc, -1, v30
                                        ; implicit-def: $vgpr29
	s_and_saveexec_b64 s[6:7], vcc
	s_xor_b64 s[6:7], exec, s[6:7]
	s_cbranch_execz .LBB0_9
; %bb.8:                                ;   in Loop: Header=BB0_6 Depth=2
	v_add_u32_e32 v29, -1, v30
	v_cmp_gt_u32_e32 vcc, 31, v29
	v_cndmask_b32_e32 v29, 0, v30, vcc
	v_sub_u32_e32 v30, 32, v30
	v_cndmask_b32_e32 v30, 0, v30, vcc
	v_lshrrev_b32_e32 v30, v30, v26
	v_lshl_or_b32 v29, v25, v29, v30
	v_xor_b32_e32 v29, v29, v24
	v_ffbh_u32_e32 v29, v29
	v_min_u32_e32 v29, 32, v29
.LBB0_9:                                ;   in Loop: Header=BB0_6 Depth=2
	s_andn2_saveexec_b64 s[6:7], s[6:7]
	s_cbranch_execz .LBB0_11
; %bb.10:                               ;   in Loop: Header=BB0_6 Depth=2
	v_sub_u32_e32 v29, s9, v19
	v_add_u32_e32 v31, -1, v29
	v_cmp_gt_u32_e32 vcc, 31, v31
	v_sub_u32_e32 v30, 32, v29
	v_cndmask_b32_e32 v29, 0, v29, vcc
	v_cndmask_b32_e32 v30, 0, v30, vcc
	v_lshrrev_b32_e32 v29, v29, v25
	v_lshl_or_b32 v29, v27, v30, v29
	v_xor_b32_e32 v29, v29, v24
	v_ffbh_u32_e32 v29, v29
	v_min_u32_e32 v29, 32, v29
.LBB0_11:                               ;   in Loop: Header=BB0_6 Depth=2
	s_or_b64 exec, exec, s[6:7]
.LBB0_12:                               ;   in Loop: Header=BB0_6 Depth=2
	s_andn2_saveexec_b64 s[4:5], s[4:5]
	s_cbranch_execz .LBB0_16
; %bb.13:                               ;   in Loop: Header=BB0_6 Depth=2
	v_max_u32_e32 v29, 1, v28
	s_mov_b32 s10, 0
	s_mov_b64 s[6:7], 0
	s_mov_b32 s11, 0
.LBB0_14:                               ;   Parent Loop BB0_4 Depth=1
                                        ;     Parent Loop BB0_6 Depth=2
                                        ; =>    This Inner Loop Header: Depth=3
	s_lshr_b32 s12, 0x80000000, s10
	s_cmp_lt_u32 s10, 31
	s_cselect_b32 s12, s12, 1
	s_add_i32 s10, s10, 1
	s_or_b32 s11, s12, s11
	v_cmp_eq_u32_e32 vcc, s10, v29
	s_or_b64 s[6:7], vcc, s[6:7]
	v_mov_b32_e32 v30, s11
	s_andn2_b64 exec, exec, s[6:7]
	s_cbranch_execnz .LBB0_14
; %bb.15:                               ;   in Loop: Header=BB0_6 Depth=2
	s_or_b64 exec, exec, s[6:7]
	v_sub_u32_e32 v29, s9, v19
	v_add_u32_e32 v31, -1, v29
	v_cmp_gt_u32_e32 vcc, 31, v31
	v_cndmask_b32_e32 v29, 0, v29, vcc
	v_lshrrev_b32_e32 v29, v29, v25
	v_xor_b32_e32 v29, v29, v24
	v_or_b32_e32 v29, v30, v29
	v_ffbh_u32_e32 v29, v29
.LBB0_16:                               ;   in Loop: Header=BB0_6 Depth=2
	s_or_b64 exec, exec, s[4:5]
	s_add_i32 s4, s8, 1
	v_max_i32_e32 v23, v29, v23
	s_cmp_eq_u32 s8, s29
	v_add_u32_e32 v28, 2, v28
	s_cbranch_scc1 .LBB0_18
; %bb.17:                               ;   in Loop: Header=BB0_6 Depth=2
	s_mov_b32 s8, s4
	s_branch .LBB0_6
.LBB0_18:                               ;   in Loop: Header=BB0_4 Depth=1
	s_and_b64 vcc, exec, s[0:1]
	s_cbranch_vccnz .LBB0_40
; %bb.19:                               ;   in Loop: Header=BB0_4 Depth=1
	v_add_u32_e32 v28, 2, v18
	v_cmp_eq_u32_e64 s[2:3], 1, v28
	v_cndmask_b32_e64 v29, v4, v5, s[2:3]
	v_cmp_eq_u32_e64 s[2:3], 2, v28
	v_cndmask_b32_e64 v29, v29, v6, s[2:3]
	;; [unrolled: 2-line block ×6, first 2 shown]
	v_cmp_eq_u32_e64 s[2:3], 7, v28
	v_cmp_lt_i32_e32 vcc, 4, v18
	v_cmp_gt_i32_e64 s[0:1], s28, v21
	v_add_u32_e32 v27, 0xffffff58, v21
	s_mov_b32 s16, 2
	s_mov_b32 s17, 1
	v_cndmask_b32_e64 v28, v29, v3, s[2:3]
	v_add_u32_e32 v29, 0xffffff57, v21
.LBB0_20:                               ;   Parent Loop BB0_4 Depth=1
                                        ; =>  This Loop Header: Depth=2
                                        ;       Child Loop BB0_24 Depth 3
                                        ;       Child Loop BB0_29 Depth 3
	s_lshl_b32 s14, s17, 1
	v_add_u32_e32 v30, s14, v19
	v_cmp_gt_u32_e64 s[4:5], 32, v30
	v_cmp_lt_u32_e64 s[2:3], 31, v30
                                        ; implicit-def: $vgpr31
	s_and_saveexec_b64 s[6:7], vcc
	s_xor_b64 s[10:11], exec, s[6:7]
	s_cbranch_execz .LBB0_32
; %bb.21:                               ;   in Loop: Header=BB0_20 Depth=2
                                        ; implicit-def: $vgpr31
	s_and_saveexec_b64 s[6:7], s[0:1]
	s_xor_b64 s[8:9], exec, s[6:7]
	s_cbranch_execz .LBB0_27
; %bb.22:                               ;   in Loop: Header=BB0_20 Depth=2
	s_sub_i32 s6, 0xc8, s14
	v_add_u32_e32 v31, 32, v21
	v_cmp_le_i32_e64 s[6:7], s6, v31
	v_mov_b32_e32 v31, 0
	s_and_saveexec_b64 s[12:13], s[6:7]
	s_cbranch_execz .LBB0_26
; %bb.23:                               ;   in Loop: Header=BB0_20 Depth=2
	s_mov_b32 s6, 0
	s_mov_b32 s7, 0
.LBB0_24:                               ;   Parent Loop BB0_4 Depth=1
                                        ;     Parent Loop BB0_20 Depth=2
                                        ; =>    This Inner Loop Header: Depth=3
	s_add_i32 s15, s6, -1
	s_lshl_b32 s18, 1, s6
	s_cmp_lt_u32 s15, 31
	s_cselect_b32 s15, s18, 1
	s_add_i32 s6, s6, 1
	s_or_b32 s7, s15, s7
	s_cmp_lg_u32 s16, s6
	s_cbranch_scc1 .LBB0_24
; %bb.25:                               ;   in Loop: Header=BB0_20 Depth=2
	v_mov_b32_e32 v31, s7
.LBB0_26:                               ;   in Loop: Header=BB0_20 Depth=2
	s_or_b64 exec, exec, s[12:13]
.LBB0_27:                               ;   in Loop: Header=BB0_20 Depth=2
	s_andn2_saveexec_b64 s[12:13], s[8:9]
	s_cbranch_execz .LBB0_31
; %bb.28:                               ;   in Loop: Header=BB0_20 Depth=2
	v_add_u32_e32 v32, s14, v27
	v_mov_b32_e32 v31, 0
	s_mov_b64 s[14:15], 0
	v_mov_b32_e32 v33, v29
.LBB0_29:                               ;   Parent Loop BB0_4 Depth=1
                                        ;     Parent Loop BB0_20 Depth=2
                                        ; =>    This Inner Loop Header: Depth=3
	v_add_u32_e32 v34, 1, v33
	v_add_u32_e32 v35, 2, v33
	v_cmp_gt_u32_e64 s[6:7], 31, v33
	v_lshlrev_b32_e64 v36, v34, 1
	v_cmp_ge_i32_e64 s[8:9], v35, v32
	v_mov_b32_e32 v33, v34
	v_cndmask_b32_e64 v34, 1, v36, s[6:7]
	s_or_b64 s[14:15], s[8:9], s[14:15]
	v_or_b32_e32 v31, v34, v31
	s_andn2_b64 exec, exec, s[14:15]
	s_cbranch_execnz .LBB0_29
; %bb.30:                               ;   in Loop: Header=BB0_20 Depth=2
	s_or_b64 exec, exec, s[14:15]
.LBB0_31:                               ;   in Loop: Header=BB0_20 Depth=2
	s_or_b64 exec, exec, s[12:13]
	v_cndmask_b32_e64 v32, 0, v30, s[4:5]
	v_sub_u32_e64 v30, 32, v30 clamp
	v_lshrrev_b32_e32 v30, v30, v26
	v_lshl_or_b32 v30, v25, v32, v30
	v_xor_b32_e32 v30, v30, v24
	v_or_b32_e32 v31, v31, v30
                                        ; implicit-def: $vgpr30
.LBB0_32:                               ;   in Loop: Header=BB0_20 Depth=2
	s_andn2_saveexec_b64 s[4:5], s[10:11]
	s_cbranch_execz .LBB0_38
; %bb.33:                               ;   in Loop: Header=BB0_20 Depth=2
                                        ; implicit-def: $vgpr31
	s_and_saveexec_b64 s[6:7], s[2:3]
	s_xor_b64 s[6:7], exec, s[6:7]
; %bb.34:                               ;   in Loop: Header=BB0_20 Depth=2
	v_and_b32_e32 v31, 31, v30
	v_sub_u32_e32 v32, 32, v31
	v_cmp_ne_u32_e64 s[2:3], 0, v31
	v_cndmask_b32_e64 v31, 0, v32, s[2:3]
	v_lshrrev_b32_e32 v31, v31, v28
	v_lshl_or_b32 v30, v26, v30, v31
	v_xor_b32_e32 v31, v30, v24
                                        ; implicit-def: $vgpr30
; %bb.35:                               ;   in Loop: Header=BB0_20 Depth=2
	s_andn2_saveexec_b64 s[2:3], s[6:7]
; %bb.36:                               ;   in Loop: Header=BB0_20 Depth=2
	v_alignbit_b32 v31, v25, v26, 1
	v_lshrrev_b32_e32 v32, 1, v25
	v_not_b32_e32 v30, v30
	v_alignbit_b32 v30, v32, v31, v30
	v_xor_b32_e32 v31, v30, v24
; %bb.37:                               ;   in Loop: Header=BB0_20 Depth=2
	s_or_b64 exec, exec, s[2:3]
.LBB0_38:                               ;   in Loop: Header=BB0_20 Depth=2
	s_or_b64 exec, exec, s[4:5]
	v_ffbh_u32_e32 v30, v31
	v_min_u32_e32 v30, 32, v30
	s_add_i32 s2, s17, 1
	s_add_i32 s16, s16, 2
	s_cmp_eq_u32 s17, s29
	v_max_i32_e32 v23, v30, v23
	s_cbranch_scc1 .LBB0_40
; %bb.39:                               ;   in Loop: Header=BB0_20 Depth=2
	s_mov_b32 s17, s2
	s_branch .LBB0_20
.LBB0_40:                               ;   in Loop: Header=BB0_4 Depth=1
	v_cmp_ne_u32_e64 s[0:1], 6, v18
	v_cmp_gt_u32_e64 s[2:3], 8, v23
	v_cmp_eq_u32_e32 vcc, 6, v18
	s_or_b64 s[2:3], s[0:1], s[2:3]
	s_mov_b64 s[0:1], -1
	s_or_b64 s[38:39], s[38:39], exec
	s_and_saveexec_b64 s[4:5], s[2:3]
	s_cbranch_execz .LBB0_3
; %bb.41:                               ;   in Loop: Header=BB0_4 Depth=1
	v_cmp_gt_u32_e64 s[0:1], 32, v23
	v_cmp_gt_i32_e64 s[2:3], 5, v18
	s_and_b64 s[2:3], s[2:3], s[0:1]
	v_cmp_gt_u32_e64 s[0:1], 8, v23
	s_and_b64 s[0:1], vcc, s[0:1]
	s_or_b64 s[0:1], s[2:3], s[0:1]
	v_cndmask_b32_e64 v24, 0, 1, s[0:1]
	v_add_u32_e32 v20, v20, v24
	v_cmp_ge_i32_e32 vcc, s29, v20
	s_mov_b64 s[0:1], -1
	s_mov_b64 s[2:3], 0
	s_and_saveexec_b64 s[6:7], vcc
	s_cbranch_execz .LBB0_2
; %bb.42:                               ;   in Loop: Header=BB0_4 Depth=1
	v_and_b32_e32 v23, -2, v23
	v_add_u32_e32 v24, v23, v19
	v_cmp_lt_i32_e32 vcc, 29, v24
	v_add_u32_e32 v25, 2, v24
	v_cndmask_b32_e32 v18, v18, v22, vcc
	v_add_u32_e32 v24, 2, v23
	v_cmp_eq_u32_e32 vcc, 32, v23
	v_cndmask_b32_e64 v23, v24, 32, vcc
	v_and_b32_e32 v22, 31, v25
	v_add_u32_e32 v21, v23, v21
	v_cndmask_b32_e32 v19, v22, v19, vcc
	v_cmp_lt_i32_e32 vcc, 6, v18
	v_cmp_lt_i32_e64 s[0:1], s33, v21
	s_or_b64 s[0:1], vcc, s[0:1]
	s_mov_b64 s[2:3], exec
	s_orn2_b64 s[0:1], s[0:1], exec
	s_branch .LBB0_2
.LBB0_43:
	s_or_b64 exec, exec, s[30:31]
	s_xor_b64 s[0:1], s[36:37], -1
	s_and_saveexec_b64 s[2:3], s[0:1]
	s_xor_b64 s[2:3], exec, s[2:3]
	s_cbranch_execz .LBB0_45
; %bb.44:
	v_mov_b32_e32 v0, 0
	global_store_dword v[16:17], v0, off
.LBB0_45:
	s_endpgm
	.section	.rodata,"a",@progbits
	.p2align	6, 0x0
	.amdhsa_kernel _Z12sneaky_snakePKjS0_Piii
		.amdhsa_group_segment_fixed_size 0
		.amdhsa_private_segment_fixed_size 0
		.amdhsa_kernarg_size 288
		.amdhsa_user_sgpr_count 6
		.amdhsa_user_sgpr_private_segment_buffer 1
		.amdhsa_user_sgpr_dispatch_ptr 0
		.amdhsa_user_sgpr_queue_ptr 0
		.amdhsa_user_sgpr_kernarg_segment_ptr 1
		.amdhsa_user_sgpr_dispatch_id 0
		.amdhsa_user_sgpr_flat_scratch_init 0
		.amdhsa_user_sgpr_private_segment_size 0
		.amdhsa_uses_dynamic_stack 0
		.amdhsa_system_sgpr_private_segment_wavefront_offset 0
		.amdhsa_system_sgpr_workgroup_id_x 1
		.amdhsa_system_sgpr_workgroup_id_y 0
		.amdhsa_system_sgpr_workgroup_id_z 0
		.amdhsa_system_sgpr_workgroup_info 0
		.amdhsa_system_vgpr_workitem_id 0
		.amdhsa_next_free_vgpr 37
		.amdhsa_next_free_sgpr 40
		.amdhsa_reserve_vcc 1
		.amdhsa_reserve_flat_scratch 0
		.amdhsa_float_round_mode_32 0
		.amdhsa_float_round_mode_16_64 0
		.amdhsa_float_denorm_mode_32 3
		.amdhsa_float_denorm_mode_16_64 3
		.amdhsa_dx10_clamp 1
		.amdhsa_ieee_mode 1
		.amdhsa_fp16_overflow 0
		.amdhsa_exception_fp_ieee_invalid_op 0
		.amdhsa_exception_fp_denorm_src 0
		.amdhsa_exception_fp_ieee_div_zero 0
		.amdhsa_exception_fp_ieee_overflow 0
		.amdhsa_exception_fp_ieee_underflow 0
		.amdhsa_exception_fp_ieee_inexact 0
		.amdhsa_exception_int_div_zero 0
	.end_amdhsa_kernel
	.text
.Lfunc_end0:
	.size	_Z12sneaky_snakePKjS0_Piii, .Lfunc_end0-_Z12sneaky_snakePKjS0_Piii
                                        ; -- End function
	.set _Z12sneaky_snakePKjS0_Piii.num_vgpr, 37
	.set _Z12sneaky_snakePKjS0_Piii.num_agpr, 0
	.set _Z12sneaky_snakePKjS0_Piii.numbered_sgpr, 40
	.set _Z12sneaky_snakePKjS0_Piii.num_named_barrier, 0
	.set _Z12sneaky_snakePKjS0_Piii.private_seg_size, 0
	.set _Z12sneaky_snakePKjS0_Piii.uses_vcc, 1
	.set _Z12sneaky_snakePKjS0_Piii.uses_flat_scratch, 0
	.set _Z12sneaky_snakePKjS0_Piii.has_dyn_sized_stack, 0
	.set _Z12sneaky_snakePKjS0_Piii.has_recursion, 0
	.set _Z12sneaky_snakePKjS0_Piii.has_indirect_call, 0
	.section	.AMDGPU.csdata,"",@progbits
; Kernel info:
; codeLenInByte = 1864
; TotalNumSgprs: 44
; NumVgprs: 37
; ScratchSize: 0
; MemoryBound: 0
; FloatMode: 240
; IeeeMode: 1
; LDSByteSize: 0 bytes/workgroup (compile time only)
; SGPRBlocks: 5
; VGPRBlocks: 9
; NumSGPRsForWavesPerEU: 44
; NumVGPRsForWavesPerEU: 37
; Occupancy: 6
; WaveLimiterHint : 0
; COMPUTE_PGM_RSRC2:SCRATCH_EN: 0
; COMPUTE_PGM_RSRC2:USER_SGPR: 6
; COMPUTE_PGM_RSRC2:TRAP_HANDLER: 0
; COMPUTE_PGM_RSRC2:TGID_X_EN: 1
; COMPUTE_PGM_RSRC2:TGID_Y_EN: 0
; COMPUTE_PGM_RSRC2:TGID_Z_EN: 0
; COMPUTE_PGM_RSRC2:TIDIG_COMP_CNT: 0
	.section	.AMDGPU.gpr_maximums,"",@progbits
	.set amdgpu.max_num_vgpr, 0
	.set amdgpu.max_num_agpr, 0
	.set amdgpu.max_num_sgpr, 0
	.section	.AMDGPU.csdata,"",@progbits
	.type	__hip_cuid_4eafb03d260cacd7,@object ; @__hip_cuid_4eafb03d260cacd7
	.section	.bss,"aw",@nobits
	.globl	__hip_cuid_4eafb03d260cacd7
__hip_cuid_4eafb03d260cacd7:
	.byte	0                               ; 0x0
	.size	__hip_cuid_4eafb03d260cacd7, 1

	.ident	"AMD clang version 22.0.0git (https://github.com/RadeonOpenCompute/llvm-project roc-7.2.4 26084 f58b06dce1f9c15707c5f808fd002e18c2accf7e)"
	.section	".note.GNU-stack","",@progbits
	.addrsig
	.addrsig_sym __hip_cuid_4eafb03d260cacd7
	.amdgpu_metadata
---
amdhsa.kernels:
  - .args:
      - .actual_access:  read_only
        .address_space:  global
        .offset:         0
        .size:           8
        .value_kind:     global_buffer
      - .actual_access:  read_only
        .address_space:  global
        .offset:         8
        .size:           8
        .value_kind:     global_buffer
      - .actual_access:  write_only
        .address_space:  global
        .offset:         16
        .size:           8
        .value_kind:     global_buffer
      - .offset:         24
        .size:           4
        .value_kind:     by_value
      - .offset:         28
        .size:           4
        .value_kind:     by_value
      - .offset:         32
        .size:           4
        .value_kind:     hidden_block_count_x
      - .offset:         36
        .size:           4
        .value_kind:     hidden_block_count_y
      - .offset:         40
        .size:           4
        .value_kind:     hidden_block_count_z
      - .offset:         44
        .size:           2
        .value_kind:     hidden_group_size_x
      - .offset:         46
        .size:           2
        .value_kind:     hidden_group_size_y
      - .offset:         48
        .size:           2
        .value_kind:     hidden_group_size_z
      - .offset:         50
        .size:           2
        .value_kind:     hidden_remainder_x
      - .offset:         52
        .size:           2
        .value_kind:     hidden_remainder_y
      - .offset:         54
        .size:           2
        .value_kind:     hidden_remainder_z
      - .offset:         72
        .size:           8
        .value_kind:     hidden_global_offset_x
      - .offset:         80
        .size:           8
        .value_kind:     hidden_global_offset_y
      - .offset:         88
        .size:           8
        .value_kind:     hidden_global_offset_z
      - .offset:         96
        .size:           2
        .value_kind:     hidden_grid_dims
    .group_segment_fixed_size: 0
    .kernarg_segment_align: 8
    .kernarg_segment_size: 288
    .language:       OpenCL C
    .language_version:
      - 2
      - 0
    .max_flat_workgroup_size: 1024
    .name:           _Z12sneaky_snakePKjS0_Piii
    .private_segment_fixed_size: 0
    .sgpr_count:     44
    .sgpr_spill_count: 0
    .symbol:         _Z12sneaky_snakePKjS0_Piii.kd
    .uniform_work_group_size: 1
    .uses_dynamic_stack: false
    .vgpr_count:     37
    .vgpr_spill_count: 0
    .wavefront_size: 64
amdhsa.target:   amdgcn-amd-amdhsa--gfx906
amdhsa.version:
  - 1
  - 2
...

	.end_amdgpu_metadata
